;; amdgpu-corpus repo=ROCm/rocFFT kind=compiled arch=gfx1100 opt=O3
	.text
	.amdgcn_target "amdgcn-amd-amdhsa--gfx1100"
	.amdhsa_code_object_version 6
	.protected	fft_rtc_back_len121_factors_11_11_wgs_121_tpt_11_dp_op_CI_CI_sbrc_xy_z_unaligned_dirReg ; -- Begin function fft_rtc_back_len121_factors_11_11_wgs_121_tpt_11_dp_op_CI_CI_sbrc_xy_z_unaligned_dirReg
	.globl	fft_rtc_back_len121_factors_11_11_wgs_121_tpt_11_dp_op_CI_CI_sbrc_xy_z_unaligned_dirReg
	.p2align	8
	.type	fft_rtc_back_len121_factors_11_11_wgs_121_tpt_11_dp_op_CI_CI_sbrc_xy_z_unaligned_dirReg,@function
fft_rtc_back_len121_factors_11_11_wgs_121_tpt_11_dp_op_CI_CI_sbrc_xy_z_unaligned_dirReg: ; @fft_rtc_back_len121_factors_11_11_wgs_121_tpt_11_dp_op_CI_CI_sbrc_xy_z_unaligned_dirReg
; %bb.0:
	s_clause 0x1
	s_load_b128 s[4:7], s[0:1], 0x10
	s_load_b64 s[20:21], s[0:1], 0x20
	s_mov_b32 s2, s15
	s_waitcnt lgkmcnt(0)
	s_load_b128 s[8:11], s[4:5], 0x8
	s_load_b64 s[16:17], s[6:7], 0x10
	s_waitcnt lgkmcnt(0)
	s_add_i32 s3, s10, -1
	s_delay_alu instid0(SALU_CYCLE_1) | instskip(NEXT) | instid1(SALU_CYCLE_1)
	s_mul_hi_u32 s3, s3, 0xba2e8ba3
	s_lshr_b32 s3, s3, 3
	s_delay_alu instid0(SALU_CYCLE_1) | instskip(NEXT) | instid1(SALU_CYCLE_1)
	s_add_i32 s3, s3, 1
	s_mul_i32 s4, s3, s8
	s_delay_alu instid0(SALU_CYCLE_1) | instskip(SKIP_1) | instid1(VALU_DEP_1)
	v_cvt_f32_u32_e32 v1, s4
	s_sub_i32 s5, 0, s4
	v_rcp_iflag_f32_e32 v1, v1
	s_waitcnt_depctr 0xfff
	v_mul_f32_e32 v1, 0x4f7ffffe, v1
	s_delay_alu instid0(VALU_DEP_1) | instskip(NEXT) | instid1(VALU_DEP_1)
	v_cvt_u32_f32_e32 v1, v1
	v_readfirstlane_b32 s3, v1
	v_cvt_f32_u32_e32 v1, s8
	s_delay_alu instid0(VALU_DEP_2) | instskip(NEXT) | instid1(SALU_CYCLE_1)
	s_mul_i32 s5, s5, s3
	s_mul_hi_u32 s5, s3, s5
	s_delay_alu instid0(SALU_CYCLE_1) | instskip(NEXT) | instid1(SALU_CYCLE_1)
	s_add_i32 s3, s3, s5
	s_mul_hi_u32 s3, s15, s3
	s_load_b128 s[12:15], s[6:7], 0x0
	s_mul_i32 s5, s3, s4
	s_add_i32 s11, s3, 1
	s_sub_i32 s5, s2, s5
	s_waitcnt lgkmcnt(0)
	s_sub_i32 s15, s5, s4
	s_cmp_ge_u32 s5, s4
	s_cselect_b32 s3, s11, s3
	s_cselect_b32 s5, s15, s5
	s_add_i32 s11, s3, 1
	s_cmp_ge_u32 s5, s4
	s_cselect_b32 s33, s11, s3
	s_mov_b32 s3, 0
	s_mul_i32 s4, s33, s4
	s_mov_b32 s19, s3
	s_sub_i32 s18, s2, s4
	s_delay_alu instid0(SALU_CYCLE_1) | instskip(NEXT) | instid1(VALU_DEP_1)
	v_cmp_lt_u64_e64 s4, s[18:19], s[8:9]
	s_and_b32 vcc_lo, exec_lo, s4
	s_mov_b64 s[4:5], 0
	s_cbranch_vccnz .LBB0_2
; %bb.1:
	v_rcp_iflag_f32_e32 v2, v1
	s_sub_i32 s5, 0, s8
	s_waitcnt_depctr 0xfff
	v_mul_f32_e32 v2, 0x4f7ffffe, v2
	s_delay_alu instid0(VALU_DEP_1) | instskip(NEXT) | instid1(VALU_DEP_1)
	v_cvt_u32_f32_e32 v2, v2
	v_readfirstlane_b32 s4, v2
	s_delay_alu instid0(VALU_DEP_1) | instskip(NEXT) | instid1(SALU_CYCLE_1)
	s_mul_i32 s5, s5, s4
	s_mul_hi_u32 s5, s4, s5
	s_delay_alu instid0(SALU_CYCLE_1) | instskip(NEXT) | instid1(SALU_CYCLE_1)
	s_add_i32 s4, s4, s5
	s_mul_hi_u32 s4, s18, s4
	s_delay_alu instid0(SALU_CYCLE_1) | instskip(SKIP_2) | instid1(SALU_CYCLE_1)
	s_mul_i32 s5, s4, s8
	s_add_i32 s11, s4, 1
	s_sub_i32 s5, s18, s5
	s_sub_i32 s15, s5, s8
	s_cmp_ge_u32 s5, s8
	s_cselect_b32 s4, s11, s4
	s_cselect_b32 s5, s15, s5
	s_add_i32 s11, s4, 1
	s_cmp_ge_u32 s5, s8
	s_cselect_b32 s4, s11, s4
.LBB0_2:
	s_load_b64 s[18:19], s[0:1], 0x58
	v_cmp_lt_u64_e64 s3, s[2:3], s[8:9]
	s_delay_alu instid0(VALU_DEP_1)
	s_and_b32 vcc_lo, exec_lo, s3
	s_cbranch_vccnz .LBB0_4
; %bb.3:
	v_rcp_iflag_f32_e32 v1, v1
	s_sub_i32 s5, 0, s8
	s_waitcnt_depctr 0xfff
	v_mul_f32_e32 v1, 0x4f7ffffe, v1
	s_delay_alu instid0(VALU_DEP_1) | instskip(NEXT) | instid1(VALU_DEP_1)
	v_cvt_u32_f32_e32 v1, v1
	v_readfirstlane_b32 s3, v1
	s_delay_alu instid0(VALU_DEP_1) | instskip(NEXT) | instid1(SALU_CYCLE_1)
	s_mul_i32 s5, s5, s3
	s_mul_hi_u32 s5, s3, s5
	s_delay_alu instid0(SALU_CYCLE_1) | instskip(NEXT) | instid1(SALU_CYCLE_1)
	s_add_i32 s3, s3, s5
	s_mul_hi_u32 s3, s2, s3
	s_delay_alu instid0(SALU_CYCLE_1) | instskip(NEXT) | instid1(SALU_CYCLE_1)
	s_mul_i32 s3, s3, s8
	s_sub_i32 s2, s2, s3
	s_delay_alu instid0(SALU_CYCLE_1) | instskip(SKIP_2) | instid1(SALU_CYCLE_1)
	s_sub_i32 s3, s2, s8
	s_cmp_ge_u32 s2, s8
	s_cselect_b32 s2, s3, s2
	s_sub_i32 s3, s2, s8
	s_cmp_ge_u32 s2, s8
	s_cselect_b32 s2, s3, s2
.LBB0_4:
	s_load_b64 s[8:9], s[0:1], 0x8
	s_mul_i32 s46, s4, 11
	s_mul_i32 s3, s2, s14
	;; [unrolled: 1-line block ×3, first 2 shown]
	v_mul_u32_u24_e32 v1, 0x21e, v0
	s_add_i32 s3, s3, s4
	s_delay_alu instid0(VALU_DEP_1) | instskip(NEXT) | instid1(VALU_DEP_1)
	v_lshrrev_b32_e32 v3, 16, v1
	v_mul_lo_u16 v1, 0x79, v3
	s_delay_alu instid0(VALU_DEP_1) | instskip(SKIP_2) | instid1(SALU_CYCLE_1)
	v_sub_nc_u16 v1, v0, v1
	s_waitcnt lgkmcnt(0)
	s_lshl_b64 s[14:15], s[8:9], 3
	s_add_u32 s4, s6, s14
	s_addc_u32 s5, s7, s15
	v_and_b32_e32 v33, 0xffff, v1
	s_load_b64 s[22:23], s[4:5], 0x0
	s_clause 0x1
	s_load_b128 s[4:7], s[20:21], 0x0
	s_load_b64 s[8:9], s[20:21], 0x10
	s_waitcnt lgkmcnt(0)
	s_mul_i32 s7, s23, s33
	s_mul_hi_u32 s9, s22, s33
	s_mul_i32 s11, s22, s33
	s_add_i32 s9, s9, s7
	s_add_u32 s22, s11, s3
	s_addc_u32 s23, s9, 0
	s_add_u32 s14, s20, s14
	s_addc_u32 s15, s21, s15
	s_add_i32 s3, s46, 11
	s_load_b64 s[14:15], s[14:15], 0x0
	s_cmp_le_u32 s3, s10
	s_mov_b32 s3, -1
	s_cselect_b32 s7, -1, 0
	s_delay_alu instid0(SALU_CYCLE_1)
	s_and_b32 vcc_lo, exec_lo, s7
	s_cbranch_vccnz .LBB0_9
; %bb.5:
	v_add_nc_u32_e32 v4, s46, v3
	s_mov_b32 s3, exec_lo
	s_delay_alu instid0(VALU_DEP_1)
	v_cmpx_gt_u32_e64 s10, v4
	s_cbranch_execz .LBB0_8
; %bb.6:
	v_mad_u64_u32 v[1:2], null, s12, v33, 0
	s_lshl_b64 s[20:21], s[22:23], 4
	v_lshlrev_b32_e32 v8, 4, v3
	s_add_u32 s9, s18, s20
	s_addc_u32 s11, s19, s21
	s_delay_alu instid0(VALU_DEP_2) | instskip(NEXT) | instid1(VALU_DEP_1)
	v_mad_u64_u32 v[5:6], null, s13, v33, v[2:3]
	v_mov_b32_e32 v2, v5
	v_mul_u32_u24_e32 v5, 0xb0, v33
	s_delay_alu instid0(VALU_DEP_2) | instskip(SKIP_1) | instid1(VALU_DEP_3)
	v_lshlrev_b64 v[6:7], 4, v[1:2]
	v_mul_lo_u32 v1, v3, s16
	v_add3_u32 v5, v5, v8, 0
	v_mov_b32_e32 v2, 0
	s_delay_alu instid0(VALU_DEP_4)
	v_add_co_u32 v6, vcc_lo, s9, v6
	v_add_co_ci_u32_e32 v7, vcc_lo, s11, v7, vcc_lo
	s_mov_b32 s9, 0
	s_mov_b32 s11, 0
	.p2align	6
.LBB0_7:                                ; =>This Inner Loop Header: Depth=1
	v_lshlrev_b64 v[8:9], 4, v[1:2]
	s_add_i32 s11, s11, 1
	v_add_nc_u32_e32 v1, s16, v1
	v_add_nc_u32_e32 v12, s11, v4
	s_delay_alu instid0(VALU_DEP_3) | instskip(NEXT) | instid1(VALU_DEP_4)
	v_add_co_u32 v8, vcc_lo, v6, v8
	v_add_co_ci_u32_e32 v9, vcc_lo, v7, v9, vcc_lo
	s_delay_alu instid0(VALU_DEP_3)
	v_cmp_le_u32_e32 vcc_lo, s10, v12
	global_load_b128 v[8:11], v[8:9], off
	s_or_b32 s9, vcc_lo, s9
	s_waitcnt vmcnt(0)
	ds_store_b128 v5, v[8:11]
	v_add_nc_u32_e32 v5, 16, v5
	s_and_not1_b32 exec_lo, exec_lo, s9
	s_cbranch_execnz .LBB0_7
.LBB0_8:
	s_or_b32 exec_lo, exec_lo, s3
	s_mov_b32 s3, 0
.LBB0_9:
	s_delay_alu instid0(SALU_CYCLE_1)
	s_and_not1_b32 vcc_lo, exec_lo, s3
	s_cbranch_vccnz .LBB0_11
; %bb.10:
	v_mad_u64_u32 v[1:2], null, s12, v33, 0
	v_mul_lo_u32 v28, s16, v3
	v_mov_b32_e32 v29, 0
	s_delay_alu instid0(VALU_DEP_3) | instskip(NEXT) | instid1(VALU_DEP_2)
	v_mad_u64_u32 v[6:7], null, s13, v33, v[2:3]
	v_lshlrev_b64 v[4:5], 4, v[28:29]
	v_add_nc_u32_e32 v28, s16, v28
	s_lshl_b64 s[12:13], s[22:23], 4
	s_delay_alu instid0(SALU_CYCLE_1) | instskip(SKIP_1) | instid1(VALU_DEP_3)
	s_add_u32 s3, s18, s12
	s_addc_u32 s9, s19, s13
	v_mov_b32_e32 v2, v6
	v_lshlrev_b64 v[7:8], 4, v[28:29]
	v_add_nc_u32_e32 v28, s16, v28
	s_delay_alu instid0(VALU_DEP_3) | instskip(NEXT) | instid1(VALU_DEP_2)
	v_lshlrev_b64 v[1:2], 4, v[1:2]
	v_lshlrev_b64 v[9:10], 4, v[28:29]
	v_add_nc_u32_e32 v28, s16, v28
	s_delay_alu instid0(VALU_DEP_3) | instskip(NEXT) | instid1(VALU_DEP_4)
	v_add_co_u32 v32, vcc_lo, s3, v1
	v_add_co_ci_u32_e32 v40, vcc_lo, s9, v2, vcc_lo
	s_delay_alu instid0(VALU_DEP_3) | instskip(NEXT) | instid1(VALU_DEP_3)
	v_lshlrev_b64 v[12:13], 4, v[28:29]
	v_add_co_u32 v1, vcc_lo, v32, v4
	v_add_nc_u32_e32 v28, s16, v28
	s_delay_alu instid0(VALU_DEP_4) | instskip(SKIP_2) | instid1(VALU_DEP_4)
	v_add_co_ci_u32_e32 v2, vcc_lo, v40, v5, vcc_lo
	v_add_co_u32 v16, vcc_lo, v32, v7
	v_add_co_ci_u32_e32 v17, vcc_lo, v40, v8, vcc_lo
	v_lshlrev_b64 v[14:15], 4, v[28:29]
	v_add_nc_u32_e32 v28, s16, v28
	v_add_co_u32 v18, vcc_lo, v32, v9
	v_add_co_ci_u32_e32 v19, vcc_lo, v40, v10, vcc_lo
	s_clause 0x1
	global_load_b128 v[4:7], v[1:2], off
	global_load_b128 v[8:11], v[16:17], off
	v_add_co_u32 v1, vcc_lo, v32, v12
	v_add_co_ci_u32_e32 v2, vcc_lo, v40, v13, vcc_lo
	v_lshlrev_b64 v[12:13], 4, v[28:29]
	v_add_nc_u32_e32 v28, s16, v28
	v_add_co_u32 v20, vcc_lo, v32, v14
	v_add_co_ci_u32_e32 v21, vcc_lo, v40, v15, vcc_lo
	s_delay_alu instid0(VALU_DEP_3)
	v_lshlrev_b64 v[30:31], 4, v[28:29]
	v_add_nc_u32_e32 v28, s16, v28
	v_add_co_u32 v24, vcc_lo, v32, v12
	v_add_co_ci_u32_e32 v25, vcc_lo, v40, v13, vcc_lo
	s_clause 0x3
	global_load_b128 v[12:15], v[18:19], off
	global_load_b128 v[16:19], v[1:2], off
	global_load_b128 v[20:23], v[20:21], off
	global_load_b128 v[24:27], v[24:25], off
	v_lshlrev_b64 v[1:2], 4, v[28:29]
	v_add_nc_u32_e32 v28, s16, v28
	v_add_co_u32 v30, vcc_lo, v32, v30
	v_add_co_ci_u32_e32 v31, vcc_lo, v40, v31, vcc_lo
	s_delay_alu instid0(VALU_DEP_3) | instskip(SKIP_3) | instid1(VALU_DEP_3)
	v_lshlrev_b64 v[34:35], 4, v[28:29]
	v_add_nc_u32_e32 v28, s16, v28
	v_add_co_u32 v1, vcc_lo, v32, v1
	v_add_co_ci_u32_e32 v2, vcc_lo, v40, v2, vcc_lo
	v_lshlrev_b64 v[36:37], 4, v[28:29]
	v_add_nc_u32_e32 v28, s16, v28
	v_add_co_u32 v38, vcc_lo, v32, v34
	v_add_co_ci_u32_e32 v39, vcc_lo, v40, v35, vcc_lo
	s_delay_alu instid0(VALU_DEP_3) | instskip(SKIP_2) | instid1(VALU_DEP_3)
	v_lshlrev_b64 v[28:29], 4, v[28:29]
	v_add_co_u32 v42, vcc_lo, v32, v36
	v_add_co_ci_u32_e32 v43, vcc_lo, v40, v37, vcc_lo
	v_add_co_u32 v46, vcc_lo, v32, v28
	s_delay_alu instid0(VALU_DEP_4)
	v_add_co_ci_u32_e32 v47, vcc_lo, v40, v29, vcc_lo
	s_clause 0x4
	global_load_b128 v[28:31], v[30:31], off
	global_load_b128 v[34:37], v[1:2], off
	;; [unrolled: 1-line block ×5, first 2 shown]
	v_mul_u32_u24_e32 v1, 0xb0, v33
	v_lshlrev_b32_e32 v2, 4, v3
	s_delay_alu instid0(VALU_DEP_1)
	v_add3_u32 v1, 0, v1, v2
	s_waitcnt vmcnt(10)
	ds_store_b128 v1, v[4:7]
	s_waitcnt vmcnt(9)
	ds_store_b128 v1, v[8:11] offset:16
	s_waitcnt vmcnt(8)
	ds_store_b128 v1, v[12:15] offset:32
	;; [unrolled: 2-line block ×10, first 2 shown]
.LBB0_11:
	v_and_b32_e32 v1, 0xffff, v0
	v_mul_hi_u32 v36, 0x1745d175, v0
	s_waitcnt lgkmcnt(0)
	s_barrier
	buffer_gl0_inv
	v_mul_u32_u24_e32 v1, 0x1746, v1
	s_mov_b32 s28, 0x8eee2c13
	s_mov_b32 s16, 0xd9c712b6
	;; [unrolled: 1-line block ×4, first 2 shown]
	v_lshrrev_b32_e32 v1, 16, v1
	s_mov_b32 s29, 0xbfed1bb4
	s_mov_b32 s17, 0x3fda9628
	;; [unrolled: 1-line block ×4, first 2 shown]
	v_mul_lo_u16 v1, v1, 11
	s_mov_b32 s19, 0xbfe14ced
	s_mov_b32 s13, 0x3feaeb8c
	;; [unrolled: 1-line block ×4, first 2 shown]
	v_sub_nc_u16 v1, v0, v1
	s_mov_b32 s30, 0xbb3a28a1
	s_mov_b32 s22, 0x7f775887
	s_mov_b32 s36, 0xfd768dbf
	s_mov_b32 s31, 0xbfe82f19
	v_and_b32_e32 v34, 0xffff, v1
	v_mul_u32_u24_e32 v1, 0xb0, v36
	s_mov_b32 s23, 0xbfe4f49e
	s_mov_b32 s37, 0xbfd207e7
	;; [unrolled: 1-line block ×3, first 2 shown]
	v_lshlrev_b32_e32 v2, 4, v34
	s_mov_b32 s25, 0xbfeeb42a
	s_mov_b32 s39, 0x3fed1bb4
	;; [unrolled: 1-line block ×4, first 2 shown]
	v_add3_u32 v35, 0, v1, v2
	s_mov_b32 s35, 0x3fefac9e
	s_mov_b32 s43, 0x3fd207e7
	;; [unrolled: 1-line block ×4, first 2 shown]
	ds_load_b128 v[5:8], v35
	ds_load_b128 v[25:28], v35 offset:1936
	ds_load_b128 v[1:4], v35 offset:19360
	;; [unrolled: 1-line block ×10, first 2 shown]
	s_mov_b32 s42, s36
	s_mov_b32 s45, 0x3fe82f19
	;; [unrolled: 1-line block ×4, first 2 shown]
	s_waitcnt lgkmcnt(0)
	s_barrier
	buffer_gl0_inv
	v_add_f64 v[29:30], v[5:6], v[25:26]
	v_add_f64 v[31:32], v[7:8], v[27:28]
	v_add_f64 v[53:54], v[27:28], -v[3:4]
	v_add_f64 v[55:56], v[27:28], v[3:4]
	v_add_f64 v[63:64], v[43:44], -v[15:16]
	v_add_f64 v[69:70], v[41:42], v[13:14]
	v_add_f64 v[71:72], v[43:44], v[15:16]
	v_add_f64 v[73:74], v[41:42], -v[13:14]
	v_add_f64 v[57:58], v[39:40], -v[11:12]
	v_add_f64 v[65:66], v[25:26], v[1:2]
	v_add_f64 v[67:68], v[25:26], -v[1:2]
	v_add_f64 v[75:76], v[23:24], v[19:20]
	;; [unrolled: 2-line block ×3, first 2 shown]
	v_add_f64 v[79:80], v[47:48], v[51:52]
	v_add_f64 v[81:82], v[47:48], -v[51:52]
	v_add_f64 v[27:28], v[45:46], v[49:50]
	v_add_f64 v[25:26], v[45:46], -v[49:50]
	v_add_f64 v[59:60], v[29:30], v[37:38]
	v_add_f64 v[61:62], v[31:32], v[39:40]
	;; [unrolled: 1-line block ×3, first 2 shown]
	v_mul_f64 v[89:90], v[53:54], s[28:29]
	v_mul_f64 v[91:92], v[55:56], s[16:17]
	;; [unrolled: 1-line block ×10, first 2 shown]
	v_add_f64 v[31:32], v[21:22], v[17:18]
	v_add_f64 v[29:30], v[21:22], -v[17:18]
	v_add_f64 v[37:38], v[37:38], -v[9:10]
	v_mul_f64 v[103:104], v[57:58], s[30:31]
	v_mul_f64 v[101:102], v[57:58], s[28:29]
	;; [unrolled: 1-line block ×22, first 2 shown]
	v_add_f64 v[41:42], v[59:60], v[41:42]
	v_add_f64 v[43:44], v[61:62], v[43:44]
	v_mul_f64 v[61:62], v[39:40], s[22:23]
	v_mul_f64 v[59:60], v[39:40], s[16:17]
	;; [unrolled: 1-line block ×3, first 2 shown]
	v_fma_f64 v[155:156], v[65:66], s[12:13], v[85:86]
	v_fma_f64 v[157:158], v[67:68], s[20:21], v[87:88]
	v_fma_f64 v[85:86], v[65:66], s[12:13], -v[85:86]
	v_fma_f64 v[87:88], v[67:68], s[18:19], v[87:88]
	v_fma_f64 v[159:160], v[65:66], s[26:27], v[93:94]
	;; [unrolled: 1-line block ×3, first 2 shown]
	v_mul_f64 v[111:112], v[39:40], s[26:27]
	v_fma_f64 v[93:94], v[65:66], s[26:27], -v[93:94]
	v_fma_f64 v[163:164], v[65:66], s[22:23], v[97:98]
	v_fma_f64 v[97:98], v[65:66], s[22:23], -v[97:98]
	v_fma_f64 v[165:166], v[65:66], s[24:25], v[53:54]
	v_fma_f64 v[53:54], v[65:66], s[24:25], -v[53:54]
	v_mul_f64 v[39:40], v[39:40], s[12:13]
	v_fma_f64 v[167:168], v[67:68], s[42:43], v[55:56]
	v_fma_f64 v[95:96], v[67:68], s[40:41], v[95:96]
	;; [unrolled: 1-line block ×4, first 2 shown]
	v_fma_f64 v[103:104], v[83:84], s[22:23], -v[103:104]
	v_fma_f64 v[171:172], v[83:84], s[24:25], v[105:106]
	v_fma_f64 v[105:106], v[83:84], s[24:25], -v[105:106]
	v_fma_f64 v[173:174], v[83:84], s[26:27], v[107:108]
	;; [unrolled: 2-line block ×3, first 2 shown]
	v_fma_f64 v[57:58], v[83:84], s[12:13], -v[57:58]
	v_mul_f64 v[141:142], v[75:76], s[12:13]
	v_fma_f64 v[185:186], v[69:70], s[12:13], v[119:120]
	v_fma_f64 v[119:120], v[69:70], s[12:13], -v[119:120]
	v_fma_f64 v[187:188], v[69:70], s[22:23], v[63:64]
	v_fma_f64 v[63:64], v[69:70], s[22:23], -v[63:64]
	v_mul_f64 v[143:144], v[75:76], s[24:25]
	v_mul_f64 v[75:76], v[75:76], s[16:17]
	;; [unrolled: 1-line block ×4, first 2 shown]
	v_add_f64 v[21:22], v[41:42], v[21:22]
	v_add_f64 v[23:24], v[43:44], v[23:24]
	v_fma_f64 v[41:42], v[65:66], s[16:17], v[89:90]
	v_fma_f64 v[43:44], v[67:68], s[38:39], v[91:92]
	v_fma_f64 v[89:90], v[65:66], s[16:17], -v[89:90]
	v_fma_f64 v[65:66], v[67:68], s[44:45], v[99:100]
	v_fma_f64 v[91:92], v[67:68], s[28:29], v[91:92]
	;; [unrolled: 1-line block ×5, first 2 shown]
	v_fma_f64 v[101:102], v[83:84], s[16:17], -v[101:102]
	v_fma_f64 v[83:84], v[37:38], s[38:39], v[59:60]
	v_fma_f64 v[59:60], v[37:38], s[28:29], v[59:60]
	;; [unrolled: 1-line block ×3, first 2 shown]
	v_add_f64 v[155:156], v[5:6], v[155:156]
	v_add_f64 v[85:86], v[5:6], v[85:86]
	;; [unrolled: 1-line block ×5, first 2 shown]
	v_fma_f64 v[181:182], v[37:38], s[40:41], v[111:112]
	v_add_f64 v[93:94], v[5:6], v[93:94]
	v_add_f64 v[163:164], v[5:6], v[163:164]
	v_fma_f64 v[183:184], v[37:38], s[18:19], v[39:40]
	v_add_f64 v[97:98], v[5:6], v[97:98]
	v_add_f64 v[165:166], v[5:6], v[165:166]
	;; [unrolled: 1-line block ×3, first 2 shown]
	v_fma_f64 v[61:62], v[37:38], s[30:31], v[61:62]
	v_fma_f64 v[109:110], v[37:38], s[42:43], v[109:110]
	;; [unrolled: 1-line block ×4, first 2 shown]
	v_add_f64 v[157:158], v[7:8], v[157:158]
	v_add_f64 v[95:96], v[7:8], v[95:96]
	v_fma_f64 v[39:40], v[69:70], s[26:27], v[113:114]
	v_mul_f64 v[145:146], v[81:82], s[36:37]
	v_mul_f64 v[149:150], v[81:82], s[30:31]
	;; [unrolled: 1-line block ×4, first 2 shown]
	v_add_f64 v[21:22], v[21:22], v[45:46]
	v_add_f64 v[23:24], v[23:24], v[47:48]
	;; [unrolled: 1-line block ×10, first 2 shown]
	v_fma_f64 v[47:48], v[69:70], s[24:25], v[115:116]
	v_fma_f64 v[53:54], v[73:74], s[36:37], v[123:124]
	v_fma_f64 v[45:46], v[69:70], s[26:27], -v[113:114]
	v_fma_f64 v[113:114], v[69:70], s[24:25], -v[115:116]
	v_fma_f64 v[115:116], v[69:70], s[16:17], v[117:118]
	v_fma_f64 v[117:118], v[69:70], s[16:17], -v[117:118]
	v_fma_f64 v[69:70], v[73:74], s[34:35], v[121:122]
	v_fma_f64 v[121:122], v[73:74], s[40:41], v[121:122]
	;; [unrolled: 1-line block ×4, first 2 shown]
	v_add_f64 v[67:68], v[67:68], v[155:156]
	v_add_f64 v[85:86], v[101:102], v[85:86]
	;; [unrolled: 1-line block ×10, first 2 shown]
	v_fma_f64 v[125:126], v[73:74], s[38:39], v[125:126]
	v_add_f64 v[83:84], v[83:84], v[157:158]
	v_mul_f64 v[155:156], v[79:80], s[16:17]
	v_mul_f64 v[101:102], v[79:80], s[26:27]
	v_fma_f64 v[87:88], v[31:32], s[22:23], v[129:130]
	v_fma_f64 v[129:130], v[31:32], s[22:23], -v[129:130]
	v_add_f64 v[21:22], v[21:22], v[49:50]
	v_add_f64 v[23:24], v[23:24], v[51:52]
	;; [unrolled: 1-line block ×4, first 2 shown]
	v_fma_f64 v[49:50], v[73:74], s[20:21], v[127:128]
	v_add_f64 v[89:90], v[103:104], v[89:90]
	v_add_f64 v[65:66], v[181:182], v[65:66]
	v_fma_f64 v[51:52], v[73:74], s[18:19], v[127:128]
	v_fma_f64 v[127:128], v[73:74], s[44:45], v[71:72]
	;; [unrolled: 1-line block ×3, first 2 shown]
	v_add_f64 v[5:6], v[57:58], v[5:6]
	v_add_f64 v[7:8], v[37:38], v[7:8]
	;; [unrolled: 1-line block ×5, first 2 shown]
	v_fma_f64 v[169:170], v[31:32], s[26:27], v[131:132]
	v_fma_f64 v[91:92], v[29:30], s[40:41], v[139:140]
	v_mul_f64 v[73:74], v[79:80], s[22:23]
	v_mul_f64 v[79:80], v[79:80], s[24:25]
	v_fma_f64 v[177:178], v[31:32], s[12:13], v[133:134]
	v_fma_f64 v[99:100], v[29:30], s[20:21], v[141:142]
	v_add_f64 v[39:40], v[39:40], v[67:68]
	v_add_f64 v[45:46], v[45:46], v[85:86]
	;; [unrolled: 1-line block ×4, first 2 shown]
	v_fma_f64 v[103:104], v[31:32], s[24:25], v[135:136]
	v_fma_f64 v[111:112], v[29:30], s[42:43], v[143:144]
	v_fma_f64 v[133:134], v[31:32], s[12:13], -v[133:134]
	v_fma_f64 v[95:96], v[29:30], s[34:35], v[139:140]
	v_fma_f64 v[139:140], v[29:30], s[28:29], v[75:76]
	v_add_f64 v[85:86], v[117:118], v[93:94]
	v_add_f64 v[93:94], v[187:188], v[107:108]
	v_fma_f64 v[131:132], v[31:32], s[26:27], -v[131:132]
	v_fma_f64 v[135:136], v[31:32], s[24:25], -v[135:136]
	v_fma_f64 v[109:110], v[29:30], s[18:19], v[141:142]
	v_fma_f64 v[141:142], v[27:28], s[24:25], -v[145:146]
	v_fma_f64 v[107:108], v[25:26], s[38:39], v[155:156]
	v_add_f64 v[17:18], v[21:22], v[17:18]
	v_add_f64 v[19:20], v[23:24], v[19:20]
	;; [unrolled: 1-line block ×4, first 2 shown]
	v_fma_f64 v[21:22], v[31:32], s[16:17], v[77:78]
	v_fma_f64 v[23:24], v[31:32], s[16:17], -v[77:78]
	v_fma_f64 v[77:78], v[29:30], s[30:31], v[137:138]
	v_add_f64 v[53:54], v[115:116], v[159:160]
	v_add_f64 v[47:48], v[113:114], v[89:90]
	;; [unrolled: 1-line block ×6, first 2 shown]
	v_fma_f64 v[31:32], v[29:30], s[44:45], v[137:138]
	v_fma_f64 v[137:138], v[29:30], s[36:37], v[143:144]
	;; [unrolled: 1-line block ×3, first 2 shown]
	v_add_f64 v[5:6], v[63:64], v[5:6]
	v_add_f64 v[7:8], v[71:72], v[7:8]
	;; [unrolled: 1-line block ×6, first 2 shown]
	v_fma_f64 v[143:144], v[27:28], s[12:13], v[147:148]
	v_fma_f64 v[75:76], v[27:28], s[24:25], v[145:146]
	v_fma_f64 v[145:146], v[27:28], s[12:13], -v[147:148]
	v_fma_f64 v[61:62], v[27:28], s[22:23], -v[149:150]
	v_fma_f64 v[63:64], v[27:28], s[16:17], v[151:152]
	v_fma_f64 v[69:70], v[27:28], s[16:17], -v[151:152]
	v_fma_f64 v[71:72], v[27:28], s[26:27], v[81:82]
	v_fma_f64 v[83:84], v[25:26], s[44:45], v[73:74]
	v_fma_f64 v[73:74], v[25:26], s[30:31], v[73:74]
	v_fma_f64 v[105:106], v[25:26], s[28:29], v[155:156]
	v_fma_f64 v[113:114], v[25:26], s[34:35], v[101:102]
	v_fma_f64 v[101:102], v[25:26], s[40:41], v[101:102]
	v_fma_f64 v[115:116], v[25:26], s[36:37], v[79:80]
	v_fma_f64 v[79:80], v[25:26], s[42:43], v[79:80]
	v_add_f64 v[13:14], v[17:18], v[13:14]
	v_add_f64 v[15:16], v[19:20], v[15:16]
	v_fma_f64 v[17:18], v[25:26], s[18:19], v[153:154]
	v_add_f64 v[41:42], v[169:170], v[41:42]
	v_add_f64 v[43:44], v[91:92], v[43:44]
	v_fma_f64 v[19:20], v[27:28], s[22:23], v[149:150]
	v_fma_f64 v[27:28], v[27:28], s[26:27], -v[81:82]
	v_fma_f64 v[81:82], v[25:26], s[20:21], v[153:154]
	v_add_f64 v[25:26], v[87:88], v[39:40]
	v_add_f64 v[39:40], v[129:130], v[45:46]
	;; [unrolled: 1-line block ×40, first 2 shown]
	v_add_nc_u32_e32 v49, s46, v34
	s_delay_alu instid0(VALU_DEP_1)
	v_cmp_gt_u32_e32 vcc_lo, s10, v49
	v_mad_u32_u24 v49, 0x6e0, v36, v35
	s_or_b32 s7, s7, vcc_lo
	v_add_f64 v[1:2], v[93:94], v[1:2]
	v_add_f64 v[3:4], v[95:96], v[3:4]
	ds_store_b128 v49, v[13:16] offset:352
	ds_store_b128 v49, v[21:24] offset:528
	;; [unrolled: 1-line block ×10, first 2 shown]
	ds_store_b128 v49, v[1:4]
	s_waitcnt lgkmcnt(0)
	s_barrier
	buffer_gl0_inv
	s_and_saveexec_b32 s9, s7
	s_cbranch_execz .LBB0_13
; %bb.12:
	v_mul_hi_u32 v1, 0x1745d175, v36
	s_load_b64 s[10:11], s[0:1], 0x0
	v_sub_nc_u32_e32 v0, v0, v33
	s_load_b64 s[0:1], s[0:1], 0x60
	s_mul_i32 s7, s5, s46
	s_mul_hi_u32 s9, s4, s46
	s_mul_i32 s2, s2, s8
	s_mul_i32 s8, s14, s33
	v_mul_u32_u24_e32 v1, 11, v1
	s_delay_alu instid0(VALU_DEP_1) | instskip(NEXT) | instid1(VALU_DEP_1)
	v_sub_nc_u32_e32 v1, v36, v1
	v_mul_u32_u24_e32 v2, 10, v1
	v_add_nc_u32_e32 v0, v0, v1
	s_delay_alu instid0(VALU_DEP_2)
	v_lshlrev_b32_e32 v2, 4, v2
	s_waitcnt lgkmcnt(0)
	s_clause 0x9
	global_load_b128 v[3:6], v2, s[10:11]
	global_load_b128 v[7:10], v2, s[10:11] offset:64
	global_load_b128 v[11:14], v2, s[10:11] offset:80
	global_load_b128 v[15:18], v2, s[10:11] offset:48
	global_load_b128 v[19:22], v2, s[10:11] offset:96
	global_load_b128 v[23:26], v2, s[10:11] offset:16
	global_load_b128 v[27:30], v2, s[10:11] offset:32
	global_load_b128 v[36:39], v2, s[10:11] offset:112
	global_load_b128 v[40:43], v2, s[10:11] offset:128
	global_load_b128 v[44:47], v2, s[10:11] offset:144
	ds_load_b128 v[48:51], v35 offset:1936
	ds_load_b128 v[52:55], v35
	ds_load_b128 v[56:59], v35 offset:9680
	ds_load_b128 v[60:63], v35 offset:11616
	;; [unrolled: 1-line block ×9, first 2 shown]
	s_mul_i32 s10, s15, s33
	s_mul_hi_u32 s11, s14, s33
	s_waitcnt vmcnt(9) lgkmcnt(10)
	v_mul_f64 v[31:32], v[48:49], v[5:6]
	v_mul_f64 v[5:6], v[50:51], v[5:6]
	s_waitcnt vmcnt(8) lgkmcnt(8)
	v_mul_f64 v[92:93], v[58:59], v[9:10]
	s_waitcnt vmcnt(7) lgkmcnt(7)
	v_mul_f64 v[94:95], v[62:63], v[13:14]
	v_mul_f64 v[9:10], v[56:57], v[9:10]
	;; [unrolled: 1-line block ×3, first 2 shown]
	s_waitcnt vmcnt(6) lgkmcnt(6)
	v_mul_f64 v[96:97], v[66:67], v[17:18]
	s_waitcnt vmcnt(5) lgkmcnt(5)
	v_mul_f64 v[98:99], v[70:71], v[21:22]
	v_mul_f64 v[17:18], v[64:65], v[17:18]
	s_waitcnt vmcnt(4) lgkmcnt(4)
	v_mul_f64 v[100:101], v[72:73], v[25:26]
	v_mul_f64 v[25:26], v[74:75], v[25:26]
	;; [unrolled: 1-line block ×3, first 2 shown]
	s_waitcnt vmcnt(2) lgkmcnt(2)
	v_mul_f64 v[102:103], v[82:83], v[38:39]
	s_waitcnt vmcnt(1) lgkmcnt(1)
	v_mul_f64 v[104:105], v[86:87], v[42:43]
	;; [unrolled: 2-line block ×3, first 2 shown]
	v_fma_f64 v[31:32], v[50:51], v[3:4], -v[31:32]
	v_fma_f64 v[2:3], v[48:49], v[3:4], v[5:6]
	v_mul_f64 v[50:51], v[78:79], v[29:30]
	v_mul_f64 v[4:5], v[76:77], v[29:30]
	v_mul_f64 v[29:30], v[80:81], v[38:39]
	v_mul_f64 v[38:39], v[84:85], v[42:43]
	v_mul_f64 v[42:43], v[88:89], v[46:47]
	v_mad_u64_u32 v[46:47], null, s4, v34, 0
	s_mul_i32 s4, s4, s46
	s_delay_alu instid0(VALU_DEP_1) | instskip(NEXT) | instid1(VALU_DEP_1)
	v_mov_b32_e32 v6, v47
	v_mad_u64_u32 v[47:48], null, s5, v34, v[6:7]
	v_fma_f64 v[34:35], v[56:57], v[7:8], v[92:93]
	v_fma_f64 v[48:49], v[60:61], v[11:12], v[94:95]
	v_fma_f64 v[6:7], v[58:59], v[7:8], -v[9:10]
	v_fma_f64 v[8:9], v[62:63], v[11:12], -v[13:14]
	v_fma_f64 v[10:11], v[64:65], v[15:16], v[96:97]
	v_fma_f64 v[12:13], v[68:69], v[19:20], v[98:99]
	v_fma_f64 v[14:15], v[66:67], v[15:16], -v[17:18]
	v_fma_f64 v[16:17], v[74:75], v[23:24], -v[100:101]
	v_fma_f64 v[23:24], v[72:73], v[23:24], v[25:26]
	v_fma_f64 v[18:19], v[70:71], v[19:20], -v[21:22]
	v_fma_f64 v[25:26], v[84:85], v[40:41], v[104:105]
	v_fma_f64 v[58:59], v[80:81], v[36:37], v[102:103]
	;; [unrolled: 1-line block ×3, first 2 shown]
	s_add_i32 s5, s9, s7
	s_add_i32 s9, s11, s10
	s_lshl_b64 s[4:5], s[4:5], 4
	v_add_f64 v[56:57], v[54:55], v[31:32]
	v_add_f64 v[20:21], v[52:53], v[2:3]
	v_fma_f64 v[50:51], v[76:77], v[27:28], v[50:51]
	v_fma_f64 v[4:5], v[78:79], v[27:28], -v[4:5]
	v_fma_f64 v[27:28], v[82:83], v[36:37], -v[29:30]
	;; [unrolled: 1-line block ×4, first 2 shown]
	v_mov_b32_e32 v45, 0
	v_mul_lo_u32 v44, v0, s6
	v_lshlrev_b64 v[0:1], 4, v[46:47]
	s_add_u32 s4, s0, s4
	s_addc_u32 s1, s1, s5
	s_lshl_b64 s[2:3], s[2:3], 4
	s_mul_i32 s0, s6, 11
	s_add_u32 s4, s4, s2
	s_addc_u32 s1, s1, s3
	s_lshl_b64 s[2:3], s[8:9], 4
	v_lshlrev_b64 v[38:39], 4, v[44:45]
	v_add_nc_u32_e32 v44, s0, v44
	s_add_u32 s2, s4, s2
	s_addc_u32 s1, s1, s3
	v_add_co_u32 v188, vcc_lo, s2, v0
	v_add_f64 v[42:43], v[34:35], -v[48:49]
	v_add_f64 v[88:89], v[34:35], v[48:49]
	v_add_f64 v[66:67], v[6:7], -v[8:9]
	v_add_f64 v[82:83], v[6:7], v[8:9]
	;; [unrolled: 2-line block ×3, first 2 shown]
	v_add_co_ci_u32_e32 v189, vcc_lo, s1, v1, vcc_lo
	v_add_f64 v[68:69], v[14:15], -v[18:19]
	v_add_f64 v[62:63], v[23:24], -v[25:26]
	v_add_f64 v[84:85], v[14:15], v[18:19]
	v_add_f64 v[64:65], v[2:3], -v[60:61]
	v_add_f64 v[2:3], v[2:3], v[60:61]
	v_lshlrev_b64 v[0:1], 4, v[44:45]
	v_add_nc_u32_e32 v44, s0, v44
	v_add_f64 v[40:41], v[56:57], v[16:17]
	v_add_f64 v[20:21], v[20:21], v[23:24]
	v_add_f64 v[56:57], v[50:51], -v[58:59]
	v_add_f64 v[92:93], v[50:51], v[58:59]
	v_add_f64 v[70:71], v[4:5], -v[27:28]
	;; [unrolled: 2-line block ×3, first 2 shown]
	v_add_f64 v[72:73], v[16:17], -v[29:30]
	v_add_f64 v[31:32], v[31:32], v[36:37]
	v_add_f64 v[16:17], v[16:17], v[29:30]
	;; [unrolled: 1-line block ×3, first 2 shown]
	v_add_co_u32 v76, vcc_lo, v188, v38
	v_add_co_ci_u32_e32 v77, vcc_lo, v189, v39, vcc_lo
	v_lshlrev_b64 v[38:39], 4, v[44:45]
	v_add_nc_u32_e32 v44, s0, v44
	v_add_co_u32 v78, vcc_lo, v188, v0
	v_add_co_ci_u32_e32 v79, vcc_lo, v189, v1, vcc_lo
	s_delay_alu instid0(VALU_DEP_3)
	v_lshlrev_b64 v[0:1], 4, v[44:45]
	v_add_nc_u32_e32 v44, s0, v44
	v_mul_f64 v[110:111], v[42:43], s[38:39]
	v_add_co_u32 v80, vcc_lo, v188, v38
	v_mul_f64 v[106:107], v[66:67], s[40:41]
	v_mul_f64 v[94:95], v[46:47], s[38:39]
	;; [unrolled: 1-line block ×4, first 2 shown]
	v_add_co_ci_u32_e32 v81, vcc_lo, v189, v39, vcc_lo
	v_mul_f64 v[98:99], v[62:63], s[20:21]
	v_mul_f64 v[116:117], v[62:63], s[34:35]
	;; [unrolled: 1-line block ×6, first 2 shown]
	v_add_f64 v[4:5], v[40:41], v[4:5]
	v_add_f64 v[20:21], v[20:21], v[50:51]
	v_mul_f64 v[50:51], v[64:65], s[36:37]
	v_mul_f64 v[64:65], v[64:65], s[18:19]
	v_mul_f64 v[96:97], v[56:57], s[30:31]
	v_mul_f64 v[100:101], v[70:71], s[30:31]
	v_mul_f64 v[104:105], v[74:75], s[36:37]
	v_mul_f64 v[122:123], v[74:75], s[30:31]
	v_mul_f64 v[130:131], v[74:75], s[40:41]
	v_mul_f64 v[138:139], v[74:75], s[28:29]
	v_mul_f64 v[74:75], v[74:75], s[18:19]
	v_mul_f64 v[114:115], v[56:57], s[18:19]
	v_mul_f64 v[126:127], v[70:71], s[18:19]
	v_mul_f64 v[132:133], v[72:73], s[34:35]
	v_mul_f64 v[134:135], v[56:57], s[38:39]
	v_mul_f64 v[142:143], v[70:71], s[38:39]
	v_mul_f64 v[146:147], v[56:57], s[42:43]
	v_mul_f64 v[148:149], v[62:63], s[30:31]
	v_mul_f64 v[150:151], v[70:71], s[42:43]
	v_mul_f64 v[152:153], v[72:73], s[30:31]
	v_mul_f64 v[102:103], v[72:73], s[20:21]
	v_mul_f64 v[144:145], v[72:73], s[42:43]
	v_mul_f64 v[108:109], v[68:69], s[38:39]
	v_mul_f64 v[124:125], v[68:69], s[36:37]
	v_mul_f64 v[40:41], v[42:43], s[40:41]
	v_lshlrev_b64 v[38:39], 4, v[44:45]
	v_add_nc_u32_e32 v44, s0, v44
	v_fma_f64 v[154:155], v[16:17], s[12:13], v[98:99]
	v_fma_f64 v[98:99], v[16:17], s[12:13], -v[98:99]
	v_fma_f64 v[164:165], v[31:32], s[22:23], v[118:119]
	v_fma_f64 v[118:119], v[31:32], s[22:23], -v[118:119]
	;; [unrolled: 2-line block ×3, first 2 shown]
	v_add_f64 v[4:5], v[4:5], v[14:15]
	v_add_f64 v[10:11], v[20:21], v[10:11]
	v_mul_f64 v[14:15], v[56:57], s[40:41]
	v_mul_f64 v[56:57], v[62:63], s[28:29]
	;; [unrolled: 1-line block ×4, first 2 shown]
	v_fma_f64 v[20:21], v[31:32], s[24:25], v[50:51]
	v_fma_f64 v[160:161], v[2:3], s[24:25], -v[104:105]
	v_fma_f64 v[50:51], v[31:32], s[24:25], -v[50:51]
	v_fma_f64 v[104:105], v[2:3], s[24:25], v[104:105]
	v_fma_f64 v[166:167], v[2:3], s[22:23], -v[122:123]
	v_fma_f64 v[122:123], v[2:3], s[22:23], v[122:123]
	;; [unrolled: 2-line block ×3, first 2 shown]
	v_fma_f64 v[172:173], v[31:32], s[16:17], v[136:137]
	v_fma_f64 v[174:175], v[2:3], s[16:17], -v[138:139]
	v_fma_f64 v[136:137], v[31:32], s[16:17], -v[136:137]
	v_fma_f64 v[138:139], v[2:3], s[16:17], v[138:139]
	v_fma_f64 v[176:177], v[31:32], s[12:13], v[64:65]
	v_fma_f64 v[178:179], v[2:3], s[12:13], -v[74:75]
	v_fma_f64 v[31:32], v[31:32], s[12:13], -v[64:65]
	v_fma_f64 v[2:3], v[2:3], s[12:13], v[74:75]
	v_fma_f64 v[64:65], v[16:17], s[26:27], v[116:117]
	v_fma_f64 v[180:181], v[22:23], s[26:27], -v[132:133]
	v_fma_f64 v[162:163], v[86:87], s[12:13], v[114:115]
	v_fma_f64 v[182:183], v[16:17], s[24:25], v[140:141]
	v_fma_f64 v[140:141], v[16:17], s[24:25], -v[140:141]
	v_fma_f64 v[158:159], v[22:23], s[12:13], -v[102:103]
	v_fma_f64 v[102:103], v[22:23], s[12:13], v[102:103]
	v_fma_f64 v[184:185], v[22:23], s[24:25], -v[144:145]
	v_fma_f64 v[144:145], v[22:23], s[24:25], v[144:145]
	;; [unrolled: 2-line block ×3, first 2 shown]
	v_fma_f64 v[96:97], v[86:87], s[22:23], -v[96:97]
	v_add_f64 v[164:165], v[54:55], v[164:165]
	v_add_f64 v[118:119], v[54:55], v[118:119]
	;; [unrolled: 1-line block ×6, first 2 shown]
	v_fma_f64 v[6:7], v[86:87], s[12:13], -v[114:115]
	v_fma_f64 v[114:115], v[16:17], s[26:27], -v[116:117]
	v_fma_f64 v[116:117], v[92:93], s[12:13], v[126:127]
	v_fma_f64 v[126:127], v[22:23], s[26:27], v[132:133]
	v_add_f64 v[20:21], v[54:55], v[20:21]
	v_add_f64 v[160:161], v[52:53], v[160:161]
	;; [unrolled: 1-line block ×16, first 2 shown]
	v_fma_f64 v[52:53], v[16:17], s[22:23], -v[148:149]
	v_fma_f64 v[54:55], v[16:17], s[22:23], v[148:149]
	v_fma_f64 v[148:149], v[16:17], s[16:17], -v[56:57]
	v_fma_f64 v[16:17], v[16:17], s[16:17], v[56:57]
	;; [unrolled: 2-line block ×3, first 2 shown]
	v_fma_f64 v[132:133], v[86:87], s[16:17], v[134:135]
	v_fma_f64 v[134:135], v[86:87], s[16:17], -v[134:135]
	v_fma_f64 v[186:187], v[86:87], s[24:25], v[146:147]
	v_fma_f64 v[146:147], v[86:87], s[24:25], -v[146:147]
	v_fma_f64 v[156:157], v[92:93], s[22:23], -v[100:101]
	v_fma_f64 v[100:101], v[92:93], s[22:23], v[100:101]
	v_add_f64 v[64:65], v[64:65], v[164:165]
	v_mul_f64 v[164:165], v[46:47], s[34:35]
	v_fma_f64 v[33:34], v[92:93], s[16:17], -v[142:143]
	v_fma_f64 v[142:143], v[92:93], s[16:17], v[142:143]
	v_add_f64 v[4:5], v[4:5], v[8:9]
	v_add_f64 v[10:11], v[10:11], v[48:49]
	v_fma_f64 v[48:49], v[22:23], s[16:17], v[70:71]
	v_fma_f64 v[22:23], v[22:23], s[16:17], -v[70:71]
	v_fma_f64 v[70:71], v[86:87], s[26:27], v[14:15]
	v_fma_f64 v[14:15], v[86:87], s[26:27], -v[14:15]
	v_fma_f64 v[86:87], v[92:93], s[26:27], -v[62:63]
	v_fma_f64 v[62:63], v[92:93], s[26:27], v[62:63]
	v_add_f64 v[20:21], v[154:155], v[20:21]
	v_mul_f64 v[154:155], v[46:47], s[18:19]
	v_add_f64 v[50:51], v[98:99], v[50:51]
	v_mul_f64 v[98:99], v[68:69], s[18:19]
	;; [unrolled: 2-line block ×3, first 2 shown]
	v_mul_f64 v[46:47], v[46:47], s[30:31]
	v_mul_f64 v[68:69], v[68:69], s[30:31]
	v_fma_f64 v[8:9], v[92:93], s[24:25], -v[150:151]
	v_fma_f64 v[150:151], v[92:93], s[24:25], v[150:151]
	v_add_f64 v[158:159], v[158:159], v[160:161]
	v_add_f64 v[102:103], v[102:103], v[104:105]
	;; [unrolled: 1-line block ×11, first 2 shown]
	v_mul_f64 v[92:93], v[42:43], s[30:31]
	v_mul_f64 v[160:161], v[66:67], s[30:31]
	;; [unrolled: 1-line block ×6, first 2 shown]
	v_fma_f64 v[136:137], v[84:85], s[16:17], v[94:95]
	v_fma_f64 v[94:95], v[84:85], s[16:17], -v[94:95]
	v_add_f64 v[64:65], v[162:163], v[64:65]
	v_add_f64 v[4:5], v[4:5], v[18:19]
	;; [unrolled: 1-line block ×8, first 2 shown]
	v_fma_f64 v[170:171], v[84:85], s[26:27], v[164:165]
	v_fma_f64 v[164:165], v[84:85], s[26:27], -v[164:165]
	v_add_f64 v[20:21], v[72:73], v[20:21]
	v_fma_f64 v[18:19], v[90:91], s[16:17], -v[108:109]
	v_fma_f64 v[108:109], v[90:91], s[16:17], v[108:109]
	v_fma_f64 v[138:139], v[84:85], s[24:25], v[112:113]
	;; [unrolled: 1-line block ×4, first 2 shown]
	v_fma_f64 v[178:179], v[90:91], s[22:23], -v[68:69]
	v_fma_f64 v[46:47], v[84:85], s[22:23], -v[46:47]
	v_fma_f64 v[68:69], v[90:91], s[22:23], v[68:69]
	v_fma_f64 v[144:145], v[90:91], s[24:25], -v[124:125]
	v_fma_f64 v[112:113], v[84:85], s[24:25], -v[112:113]
	v_fma_f64 v[124:125], v[90:91], s[24:25], v[124:125]
	v_fma_f64 v[152:153], v[84:85], s[12:13], v[154:155]
	v_add_f64 v[52:53], v[146:147], v[52:53]
	v_fma_f64 v[168:169], v[90:91], s[12:13], -v[98:99]
	v_add_f64 v[14:15], v[14:15], v[31:32]
	v_fma_f64 v[154:155], v[84:85], s[12:13], -v[154:155]
	v_fma_f64 v[98:99], v[90:91], s[12:13], v[98:99]
	v_fma_f64 v[172:173], v[90:91], s[26:27], -v[180:181]
	v_add_f64 v[72:73], v[156:157], v[158:159]
	v_add_f64 v[84:85], v[100:101], v[102:103]
	;; [unrolled: 1-line block ×18, first 2 shown]
	v_fma_f64 v[56:57], v[82:83], s[16:17], v[110:111]
	v_fma_f64 v[62:63], v[82:83], s[16:17], -v[110:111]
	v_fma_f64 v[110:111], v[88:89], s[12:13], -v[118:119]
	v_fma_f64 v[114:115], v[88:89], s[12:13], v[118:119]
	v_fma_f64 v[116:117], v[82:83], s[24:25], v[42:43]
	v_fma_f64 v[118:119], v[88:89], s[24:25], -v[66:67]
	v_fma_f64 v[42:43], v[82:83], s[24:25], -v[42:43]
	v_fma_f64 v[66:67], v[88:89], s[24:25], v[66:67]
	v_fma_f64 v[140:141], v[82:83], s[26:27], v[40:41]
	v_fma_f64 v[102:103], v[82:83], s[12:13], v[104:105]
	v_fma_f64 v[104:105], v[82:83], s[12:13], -v[104:105]
	v_add_f64 v[20:21], v[136:137], v[20:21]
	v_fma_f64 v[148:149], v[88:89], s[26:27], -v[106:107]
	v_fma_f64 v[106:107], v[88:89], s[26:27], v[106:107]
	v_add_f64 v[52:53], v[164:165], v[52:53]
	v_fma_f64 v[58:59], v[88:89], s[16:17], -v[120:121]
	v_add_f64 v[46:47], v[46:47], v[14:15]
	v_fma_f64 v[70:71], v[88:89], s[16:17], v[120:121]
	v_fma_f64 v[86:87], v[82:83], s[22:23], v[92:93]
	v_fma_f64 v[96:97], v[88:89], s[22:23], -v[160:161]
	v_fma_f64 v[92:93], v[82:83], s[22:23], -v[92:93]
	v_fma_f64 v[100:101], v[88:89], s[22:23], v[160:161]
	v_add_f64 v[18:19], v[18:19], v[72:73]
	v_add_f64 v[72:73], v[108:109], v[84:85]
	;; [unrolled: 1-line block ×3, first 2 shown]
	v_fma_f64 v[40:41], v[82:83], s[26:27], -v[40:41]
	v_add_f64 v[82:83], v[112:113], v[6:7]
	v_add_f64 v[90:91], v[124:125], v[31:32]
	;; [unrolled: 1-line block ×16, first 2 shown]
	v_add_co_u32 v112, vcc_lo, v188, v0
	v_add_co_ci_u32_e32 v113, vcc_lo, v189, v1, vcc_lo
	v_lshlrev_b64 v[0:1], 4, v[44:45]
	v_add_co_u32 v120, vcc_lo, v188, v38
	v_add_co_ci_u32_e32 v121, vcc_lo, v189, v39, vcc_lo
	v_add_f64 v[2:3], v[140:141], v[20:21]
	s_delay_alu instid0(VALU_DEP_4)
	v_add_co_u32 v124, vcc_lo, v188, v0
	v_add_f64 v[26:27], v[42:43], v[46:47]
	v_add_f64 v[22:23], v[104:105], v[52:53]
	v_add_co_ci_u32_e32 v125, vcc_lo, v189, v1, vcc_lo
	v_add_nc_u32_e32 v44, s0, v44
	v_add_f64 v[0:1], v[148:149], v[18:19]
	v_add_f64 v[4:5], v[106:107], v[72:73]
	;; [unrolled: 1-line block ×3, first 2 shown]
	s_delay_alu instid0(VALU_DEP_4)
	v_lshlrev_b64 v[122:123], 4, v[44:45]
	v_add_f64 v[14:15], v[62:63], v[82:83]
	v_add_nc_u32_e32 v44, s0, v44
	v_add_f64 v[6:7], v[40:41], v[50:51]
	v_add_f64 v[10:11], v[56:57], v[64:65]
	v_add_f64 v[30:31], v[29:30], v[36:37]
	v_add_f64 v[28:29], v[24:25], v[60:61]
	v_add_f64 v[24:25], v[66:67], v[68:69]
	v_add_f64 v[20:21], v[114:115], v[12:13]
	v_add_f64 v[16:17], v[100:101], v[88:89]
	v_add_f64 v[12:13], v[70:71], v[90:91]
	v_add_f64 v[8:9], v[58:59], v[74:75]
	v_add_f64 v[34:35], v[86:87], v[48:49]
	v_add_f64 v[32:33], v[96:97], v[32:33]
	v_add_f64 v[38:39], v[102:103], v[54:55]
	v_add_f64 v[36:37], v[110:111], v[94:95]
	v_add_f64 v[42:43], v[116:117], v[98:99]
	v_add_f64 v[40:41], v[118:119], v[108:109]
	v_lshlrev_b64 v[46:47], 4, v[44:45]
	v_add_nc_u32_e32 v44, s0, v44
	v_add_co_u32 v48, vcc_lo, v188, v122
	v_add_co_ci_u32_e32 v49, vcc_lo, v189, v123, vcc_lo
	s_delay_alu instid0(VALU_DEP_3) | instskip(SKIP_3) | instid1(VALU_DEP_3)
	v_lshlrev_b64 v[50:51], 4, v[44:45]
	v_add_nc_u32_e32 v44, s0, v44
	v_add_co_u32 v46, vcc_lo, v188, v46
	v_add_co_ci_u32_e32 v47, vcc_lo, v189, v47, vcc_lo
	v_lshlrev_b64 v[52:53], 4, v[44:45]
	v_add_nc_u32_e32 v44, s0, v44
	v_add_co_u32 v50, vcc_lo, v188, v50
	v_add_co_ci_u32_e32 v51, vcc_lo, v189, v51, vcc_lo
	s_delay_alu instid0(VALU_DEP_3) | instskip(SKIP_2) | instid1(VALU_DEP_3)
	v_lshlrev_b64 v[44:45], 4, v[44:45]
	v_add_co_u32 v52, vcc_lo, v188, v52
	v_add_co_ci_u32_e32 v53, vcc_lo, v189, v53, vcc_lo
	v_add_co_u32 v44, vcc_lo, v188, v44
	s_delay_alu instid0(VALU_DEP_4)
	v_add_co_ci_u32_e32 v45, vcc_lo, v189, v45, vcc_lo
	s_clause 0xa
	global_store_b128 v[76:77], v[28:31], off
	global_store_b128 v[78:79], v[24:27], off
	;; [unrolled: 1-line block ×11, first 2 shown]
.LBB0_13:
	s_nop 0
	s_sendmsg sendmsg(MSG_DEALLOC_VGPRS)
	s_endpgm
	.section	.rodata,"a",@progbits
	.p2align	6, 0x0
	.amdhsa_kernel fft_rtc_back_len121_factors_11_11_wgs_121_tpt_11_dp_op_CI_CI_sbrc_xy_z_unaligned_dirReg
		.amdhsa_group_segment_fixed_size 0
		.amdhsa_private_segment_fixed_size 0
		.amdhsa_kernarg_size 104
		.amdhsa_user_sgpr_count 15
		.amdhsa_user_sgpr_dispatch_ptr 0
		.amdhsa_user_sgpr_queue_ptr 0
		.amdhsa_user_sgpr_kernarg_segment_ptr 1
		.amdhsa_user_sgpr_dispatch_id 0
		.amdhsa_user_sgpr_private_segment_size 0
		.amdhsa_wavefront_size32 1
		.amdhsa_uses_dynamic_stack 0
		.amdhsa_enable_private_segment 0
		.amdhsa_system_sgpr_workgroup_id_x 1
		.amdhsa_system_sgpr_workgroup_id_y 0
		.amdhsa_system_sgpr_workgroup_id_z 0
		.amdhsa_system_sgpr_workgroup_info 0
		.amdhsa_system_vgpr_workitem_id 0
		.amdhsa_next_free_vgpr 190
		.amdhsa_next_free_sgpr 47
		.amdhsa_reserve_vcc 1
		.amdhsa_float_round_mode_32 0
		.amdhsa_float_round_mode_16_64 0
		.amdhsa_float_denorm_mode_32 3
		.amdhsa_float_denorm_mode_16_64 3
		.amdhsa_dx10_clamp 1
		.amdhsa_ieee_mode 1
		.amdhsa_fp16_overflow 0
		.amdhsa_workgroup_processor_mode 1
		.amdhsa_memory_ordered 1
		.amdhsa_forward_progress 0
		.amdhsa_shared_vgpr_count 0
		.amdhsa_exception_fp_ieee_invalid_op 0
		.amdhsa_exception_fp_denorm_src 0
		.amdhsa_exception_fp_ieee_div_zero 0
		.amdhsa_exception_fp_ieee_overflow 0
		.amdhsa_exception_fp_ieee_underflow 0
		.amdhsa_exception_fp_ieee_inexact 0
		.amdhsa_exception_int_div_zero 0
	.end_amdhsa_kernel
	.text
.Lfunc_end0:
	.size	fft_rtc_back_len121_factors_11_11_wgs_121_tpt_11_dp_op_CI_CI_sbrc_xy_z_unaligned_dirReg, .Lfunc_end0-fft_rtc_back_len121_factors_11_11_wgs_121_tpt_11_dp_op_CI_CI_sbrc_xy_z_unaligned_dirReg
                                        ; -- End function
	.section	.AMDGPU.csdata,"",@progbits
; Kernel info:
; codeLenInByte = 7812
; NumSgprs: 49
; NumVgprs: 190
; ScratchSize: 0
; MemoryBound: 0
; FloatMode: 240
; IeeeMode: 1
; LDSByteSize: 0 bytes/workgroup (compile time only)
; SGPRBlocks: 6
; VGPRBlocks: 23
; NumSGPRsForWavesPerEU: 49
; NumVGPRsForWavesPerEU: 190
; Occupancy: 8
; WaveLimiterHint : 1
; COMPUTE_PGM_RSRC2:SCRATCH_EN: 0
; COMPUTE_PGM_RSRC2:USER_SGPR: 15
; COMPUTE_PGM_RSRC2:TRAP_HANDLER: 0
; COMPUTE_PGM_RSRC2:TGID_X_EN: 1
; COMPUTE_PGM_RSRC2:TGID_Y_EN: 0
; COMPUTE_PGM_RSRC2:TGID_Z_EN: 0
; COMPUTE_PGM_RSRC2:TIDIG_COMP_CNT: 0
	.text
	.p2alignl 7, 3214868480
	.fill 96, 4, 3214868480
	.type	__hip_cuid_35e3eb521e7589e3,@object ; @__hip_cuid_35e3eb521e7589e3
	.section	.bss,"aw",@nobits
	.globl	__hip_cuid_35e3eb521e7589e3
__hip_cuid_35e3eb521e7589e3:
	.byte	0                               ; 0x0
	.size	__hip_cuid_35e3eb521e7589e3, 1

	.ident	"AMD clang version 19.0.0git (https://github.com/RadeonOpenCompute/llvm-project roc-6.4.0 25133 c7fe45cf4b819c5991fe208aaa96edf142730f1d)"
	.section	".note.GNU-stack","",@progbits
	.addrsig
	.addrsig_sym __hip_cuid_35e3eb521e7589e3
	.amdgpu_metadata
---
amdhsa.kernels:
  - .args:
      - .actual_access:  read_only
        .address_space:  global
        .offset:         0
        .size:           8
        .value_kind:     global_buffer
      - .offset:         8
        .size:           8
        .value_kind:     by_value
      - .actual_access:  read_only
        .address_space:  global
        .offset:         16
        .size:           8
        .value_kind:     global_buffer
      - .actual_access:  read_only
        .address_space:  global
        .offset:         24
        .size:           8
        .value_kind:     global_buffer
      - .actual_access:  read_only
        .address_space:  global
        .offset:         32
        .size:           8
        .value_kind:     global_buffer
      - .offset:         40
        .size:           8
        .value_kind:     by_value
      - .actual_access:  read_only
        .address_space:  global
        .offset:         48
        .size:           8
        .value_kind:     global_buffer
      - .actual_access:  read_only
        .address_space:  global
        .offset:         56
        .size:           8
        .value_kind:     global_buffer
      - .offset:         64
        .size:           4
        .value_kind:     by_value
      - .actual_access:  read_only
        .address_space:  global
        .offset:         72
        .size:           8
        .value_kind:     global_buffer
      - .actual_access:  read_only
        .address_space:  global
        .offset:         80
        .size:           8
        .value_kind:     global_buffer
      - .actual_access:  read_only
        .address_space:  global
        .offset:         88
        .size:           8
        .value_kind:     global_buffer
      - .actual_access:  write_only
        .address_space:  global
        .offset:         96
        .size:           8
        .value_kind:     global_buffer
    .group_segment_fixed_size: 0
    .kernarg_segment_align: 8
    .kernarg_segment_size: 104
    .language:       OpenCL C
    .language_version:
      - 2
      - 0
    .max_flat_workgroup_size: 121
    .name:           fft_rtc_back_len121_factors_11_11_wgs_121_tpt_11_dp_op_CI_CI_sbrc_xy_z_unaligned_dirReg
    .private_segment_fixed_size: 0
    .sgpr_count:     49
    .sgpr_spill_count: 0
    .symbol:         fft_rtc_back_len121_factors_11_11_wgs_121_tpt_11_dp_op_CI_CI_sbrc_xy_z_unaligned_dirReg.kd
    .uniform_work_group_size: 1
    .uses_dynamic_stack: false
    .vgpr_count:     190
    .vgpr_spill_count: 0
    .wavefront_size: 32
    .workgroup_processor_mode: 1
amdhsa.target:   amdgcn-amd-amdhsa--gfx1100
amdhsa.version:
  - 1
  - 2
...

	.end_amdgpu_metadata
